;; amdgpu-corpus repo=ROCm/rocFFT kind=compiled arch=gfx1201 opt=O3
	.text
	.amdgcn_target "amdgcn-amd-amdhsa--gfx1201"
	.amdhsa_code_object_version 6
	.protected	fft_rtc_fwd_len1296_factors_6_6_6_6_wgs_108_tpt_108_halfLds_sp_ip_CI_unitstride_sbrr_R2C_dirReg ; -- Begin function fft_rtc_fwd_len1296_factors_6_6_6_6_wgs_108_tpt_108_halfLds_sp_ip_CI_unitstride_sbrr_R2C_dirReg
	.globl	fft_rtc_fwd_len1296_factors_6_6_6_6_wgs_108_tpt_108_halfLds_sp_ip_CI_unitstride_sbrr_R2C_dirReg
	.p2align	8
	.type	fft_rtc_fwd_len1296_factors_6_6_6_6_wgs_108_tpt_108_halfLds_sp_ip_CI_unitstride_sbrr_R2C_dirReg,@function
fft_rtc_fwd_len1296_factors_6_6_6_6_wgs_108_tpt_108_halfLds_sp_ip_CI_unitstride_sbrr_R2C_dirReg: ; @fft_rtc_fwd_len1296_factors_6_6_6_6_wgs_108_tpt_108_halfLds_sp_ip_CI_unitstride_sbrr_R2C_dirReg
; %bb.0:
	s_clause 0x2
	s_load_b128 s[4:7], s[0:1], 0x0
	s_load_b64 s[8:9], s[0:1], 0x50
	s_load_b64 s[10:11], s[0:1], 0x18
	v_mul_u32_u24_e32 v1, 0x25f, v0
	v_mov_b32_e32 v3, 0
	s_delay_alu instid0(VALU_DEP_2) | instskip(NEXT) | instid1(VALU_DEP_1)
	v_lshrrev_b32_e32 v1, 16, v1
	v_add_nc_u32_e32 v5, ttmp9, v1
	v_mov_b32_e32 v1, 0
	v_mov_b32_e32 v2, 0
	;; [unrolled: 1-line block ×3, first 2 shown]
	s_wait_kmcnt 0x0
	v_cmp_lt_u64_e64 s2, s[6:7], 2
	s_delay_alu instid0(VALU_DEP_1)
	s_and_b32 vcc_lo, exec_lo, s2
	s_cbranch_vccnz .LBB0_8
; %bb.1:
	s_load_b64 s[2:3], s[0:1], 0x10
	v_mov_b32_e32 v1, 0
	v_mov_b32_e32 v2, 0
	s_add_nc_u64 s[12:13], s[10:11], 8
	s_mov_b64 s[14:15], 1
	s_wait_kmcnt 0x0
	s_add_nc_u64 s[16:17], s[2:3], 8
	s_mov_b32 s3, 0
.LBB0_2:                                ; =>This Inner Loop Header: Depth=1
	s_load_b64 s[18:19], s[16:17], 0x0
                                        ; implicit-def: $vgpr7_vgpr8
	s_mov_b32 s2, exec_lo
	s_wait_kmcnt 0x0
	v_or_b32_e32 v4, s19, v6
	s_delay_alu instid0(VALU_DEP_1)
	v_cmpx_ne_u64_e32 0, v[3:4]
	s_wait_alu 0xfffe
	s_xor_b32 s20, exec_lo, s2
	s_cbranch_execz .LBB0_4
; %bb.3:                                ;   in Loop: Header=BB0_2 Depth=1
	s_cvt_f32_u32 s2, s18
	s_cvt_f32_u32 s21, s19
	s_sub_nc_u64 s[24:25], 0, s[18:19]
	s_wait_alu 0xfffe
	s_delay_alu instid0(SALU_CYCLE_1) | instskip(SKIP_1) | instid1(SALU_CYCLE_2)
	s_fmamk_f32 s2, s21, 0x4f800000, s2
	s_wait_alu 0xfffe
	v_s_rcp_f32 s2, s2
	s_delay_alu instid0(TRANS32_DEP_1) | instskip(SKIP_1) | instid1(SALU_CYCLE_2)
	s_mul_f32 s2, s2, 0x5f7ffffc
	s_wait_alu 0xfffe
	s_mul_f32 s21, s2, 0x2f800000
	s_wait_alu 0xfffe
	s_delay_alu instid0(SALU_CYCLE_2) | instskip(SKIP_1) | instid1(SALU_CYCLE_2)
	s_trunc_f32 s21, s21
	s_wait_alu 0xfffe
	s_fmamk_f32 s2, s21, 0xcf800000, s2
	s_cvt_u32_f32 s23, s21
	s_wait_alu 0xfffe
	s_delay_alu instid0(SALU_CYCLE_1) | instskip(SKIP_1) | instid1(SALU_CYCLE_2)
	s_cvt_u32_f32 s22, s2
	s_wait_alu 0xfffe
	s_mul_u64 s[26:27], s[24:25], s[22:23]
	s_wait_alu 0xfffe
	s_mul_hi_u32 s29, s22, s27
	s_mul_i32 s28, s22, s27
	s_mul_hi_u32 s2, s22, s26
	s_mul_i32 s30, s23, s26
	s_wait_alu 0xfffe
	s_add_nc_u64 s[28:29], s[2:3], s[28:29]
	s_mul_hi_u32 s21, s23, s26
	s_mul_hi_u32 s31, s23, s27
	s_add_co_u32 s2, s28, s30
	s_wait_alu 0xfffe
	s_add_co_ci_u32 s2, s29, s21
	s_mul_i32 s26, s23, s27
	s_add_co_ci_u32 s27, s31, 0
	s_wait_alu 0xfffe
	s_add_nc_u64 s[26:27], s[2:3], s[26:27]
	s_wait_alu 0xfffe
	v_add_co_u32 v4, s2, s22, s26
	s_delay_alu instid0(VALU_DEP_1) | instskip(SKIP_1) | instid1(VALU_DEP_1)
	s_cmp_lg_u32 s2, 0
	s_add_co_ci_u32 s23, s23, s27
	v_readfirstlane_b32 s22, v4
	s_wait_alu 0xfffe
	s_delay_alu instid0(VALU_DEP_1)
	s_mul_u64 s[24:25], s[24:25], s[22:23]
	s_wait_alu 0xfffe
	s_mul_hi_u32 s27, s22, s25
	s_mul_i32 s26, s22, s25
	s_mul_hi_u32 s2, s22, s24
	s_mul_i32 s28, s23, s24
	s_wait_alu 0xfffe
	s_add_nc_u64 s[26:27], s[2:3], s[26:27]
	s_mul_hi_u32 s21, s23, s24
	s_mul_hi_u32 s22, s23, s25
	s_wait_alu 0xfffe
	s_add_co_u32 s2, s26, s28
	s_add_co_ci_u32 s2, s27, s21
	s_mul_i32 s24, s23, s25
	s_add_co_ci_u32 s25, s22, 0
	s_wait_alu 0xfffe
	s_add_nc_u64 s[24:25], s[2:3], s[24:25]
	s_wait_alu 0xfffe
	v_add_co_u32 v4, s2, v4, s24
	s_delay_alu instid0(VALU_DEP_1) | instskip(SKIP_1) | instid1(VALU_DEP_1)
	s_cmp_lg_u32 s2, 0
	s_add_co_ci_u32 s2, s23, s25
	v_mul_hi_u32 v13, v5, v4
	s_wait_alu 0xfffe
	v_mad_co_u64_u32 v[7:8], null, v5, s2, 0
	v_mad_co_u64_u32 v[9:10], null, v6, v4, 0
	;; [unrolled: 1-line block ×3, first 2 shown]
	s_delay_alu instid0(VALU_DEP_3) | instskip(SKIP_1) | instid1(VALU_DEP_4)
	v_add_co_u32 v4, vcc_lo, v13, v7
	s_wait_alu 0xfffd
	v_add_co_ci_u32_e32 v7, vcc_lo, 0, v8, vcc_lo
	s_delay_alu instid0(VALU_DEP_2) | instskip(SKIP_1) | instid1(VALU_DEP_2)
	v_add_co_u32 v4, vcc_lo, v4, v9
	s_wait_alu 0xfffd
	v_add_co_ci_u32_e32 v4, vcc_lo, v7, v10, vcc_lo
	s_wait_alu 0xfffd
	v_add_co_ci_u32_e32 v7, vcc_lo, 0, v12, vcc_lo
	s_delay_alu instid0(VALU_DEP_2) | instskip(SKIP_1) | instid1(VALU_DEP_2)
	v_add_co_u32 v4, vcc_lo, v4, v11
	s_wait_alu 0xfffd
	v_add_co_ci_u32_e32 v9, vcc_lo, 0, v7, vcc_lo
	s_delay_alu instid0(VALU_DEP_2) | instskip(SKIP_1) | instid1(VALU_DEP_3)
	v_mul_lo_u32 v10, s19, v4
	v_mad_co_u64_u32 v[7:8], null, s18, v4, 0
	v_mul_lo_u32 v11, s18, v9
	s_delay_alu instid0(VALU_DEP_2) | instskip(NEXT) | instid1(VALU_DEP_2)
	v_sub_co_u32 v7, vcc_lo, v5, v7
	v_add3_u32 v8, v8, v11, v10
	s_delay_alu instid0(VALU_DEP_1) | instskip(SKIP_1) | instid1(VALU_DEP_1)
	v_sub_nc_u32_e32 v10, v6, v8
	s_wait_alu 0xfffd
	v_subrev_co_ci_u32_e64 v10, s2, s19, v10, vcc_lo
	v_add_co_u32 v11, s2, v4, 2
	s_wait_alu 0xf1ff
	v_add_co_ci_u32_e64 v12, s2, 0, v9, s2
	v_sub_co_u32 v13, s2, v7, s18
	v_sub_co_ci_u32_e32 v8, vcc_lo, v6, v8, vcc_lo
	s_wait_alu 0xf1ff
	v_subrev_co_ci_u32_e64 v10, s2, 0, v10, s2
	s_delay_alu instid0(VALU_DEP_3) | instskip(NEXT) | instid1(VALU_DEP_3)
	v_cmp_le_u32_e32 vcc_lo, s18, v13
	v_cmp_eq_u32_e64 s2, s19, v8
	s_wait_alu 0xfffd
	v_cndmask_b32_e64 v13, 0, -1, vcc_lo
	v_cmp_le_u32_e32 vcc_lo, s19, v10
	s_wait_alu 0xfffd
	v_cndmask_b32_e64 v14, 0, -1, vcc_lo
	v_cmp_le_u32_e32 vcc_lo, s18, v7
	;; [unrolled: 3-line block ×3, first 2 shown]
	s_wait_alu 0xfffd
	v_cndmask_b32_e64 v15, 0, -1, vcc_lo
	v_cmp_eq_u32_e32 vcc_lo, s19, v10
	s_wait_alu 0xf1ff
	s_delay_alu instid0(VALU_DEP_2)
	v_cndmask_b32_e64 v7, v15, v7, s2
	s_wait_alu 0xfffd
	v_cndmask_b32_e32 v10, v14, v13, vcc_lo
	v_add_co_u32 v13, vcc_lo, v4, 1
	s_wait_alu 0xfffd
	v_add_co_ci_u32_e32 v14, vcc_lo, 0, v9, vcc_lo
	s_delay_alu instid0(VALU_DEP_3) | instskip(SKIP_2) | instid1(VALU_DEP_3)
	v_cmp_ne_u32_e32 vcc_lo, 0, v10
	s_wait_alu 0xfffd
	v_cndmask_b32_e32 v10, v13, v11, vcc_lo
	v_cndmask_b32_e32 v8, v14, v12, vcc_lo
	v_cmp_ne_u32_e32 vcc_lo, 0, v7
	s_wait_alu 0xfffd
	s_delay_alu instid0(VALU_DEP_2)
	v_dual_cndmask_b32 v7, v4, v10 :: v_dual_cndmask_b32 v8, v9, v8
.LBB0_4:                                ;   in Loop: Header=BB0_2 Depth=1
	s_wait_alu 0xfffe
	s_and_not1_saveexec_b32 s2, s20
	s_cbranch_execz .LBB0_6
; %bb.5:                                ;   in Loop: Header=BB0_2 Depth=1
	v_cvt_f32_u32_e32 v4, s18
	s_sub_co_i32 s20, 0, s18
	s_delay_alu instid0(VALU_DEP_1) | instskip(NEXT) | instid1(TRANS32_DEP_1)
	v_rcp_iflag_f32_e32 v4, v4
	v_mul_f32_e32 v4, 0x4f7ffffe, v4
	s_delay_alu instid0(VALU_DEP_1) | instskip(SKIP_1) | instid1(VALU_DEP_1)
	v_cvt_u32_f32_e32 v4, v4
	s_wait_alu 0xfffe
	v_mul_lo_u32 v7, s20, v4
	s_delay_alu instid0(VALU_DEP_1) | instskip(NEXT) | instid1(VALU_DEP_1)
	v_mul_hi_u32 v7, v4, v7
	v_add_nc_u32_e32 v4, v4, v7
	s_delay_alu instid0(VALU_DEP_1) | instskip(NEXT) | instid1(VALU_DEP_1)
	v_mul_hi_u32 v4, v5, v4
	v_mul_lo_u32 v7, v4, s18
	v_add_nc_u32_e32 v8, 1, v4
	s_delay_alu instid0(VALU_DEP_2) | instskip(NEXT) | instid1(VALU_DEP_1)
	v_sub_nc_u32_e32 v7, v5, v7
	v_subrev_nc_u32_e32 v9, s18, v7
	v_cmp_le_u32_e32 vcc_lo, s18, v7
	s_wait_alu 0xfffd
	s_delay_alu instid0(VALU_DEP_2) | instskip(NEXT) | instid1(VALU_DEP_1)
	v_dual_cndmask_b32 v7, v7, v9 :: v_dual_cndmask_b32 v4, v4, v8
	v_cmp_le_u32_e32 vcc_lo, s18, v7
	s_delay_alu instid0(VALU_DEP_2) | instskip(SKIP_1) | instid1(VALU_DEP_1)
	v_add_nc_u32_e32 v8, 1, v4
	s_wait_alu 0xfffd
	v_dual_cndmask_b32 v7, v4, v8 :: v_dual_mov_b32 v8, v3
.LBB0_6:                                ;   in Loop: Header=BB0_2 Depth=1
	s_wait_alu 0xfffe
	s_or_b32 exec_lo, exec_lo, s2
	s_load_b64 s[20:21], s[12:13], 0x0
	s_delay_alu instid0(VALU_DEP_1)
	v_mul_lo_u32 v4, v8, s18
	v_mul_lo_u32 v11, v7, s19
	v_mad_co_u64_u32 v[9:10], null, v7, s18, 0
	s_add_nc_u64 s[14:15], s[14:15], 1
	s_add_nc_u64 s[12:13], s[12:13], 8
	s_wait_alu 0xfffe
	v_cmp_ge_u64_e64 s2, s[14:15], s[6:7]
	s_add_nc_u64 s[16:17], s[16:17], 8
	s_delay_alu instid0(VALU_DEP_2) | instskip(NEXT) | instid1(VALU_DEP_3)
	v_add3_u32 v4, v10, v11, v4
	v_sub_co_u32 v5, vcc_lo, v5, v9
	s_wait_alu 0xfffd
	s_delay_alu instid0(VALU_DEP_2) | instskip(SKIP_3) | instid1(VALU_DEP_2)
	v_sub_co_ci_u32_e32 v4, vcc_lo, v6, v4, vcc_lo
	s_and_b32 vcc_lo, exec_lo, s2
	s_wait_kmcnt 0x0
	v_mul_lo_u32 v6, s21, v5
	v_mul_lo_u32 v4, s20, v4
	v_mad_co_u64_u32 v[1:2], null, s20, v5, v[1:2]
	s_delay_alu instid0(VALU_DEP_1)
	v_add3_u32 v2, v6, v2, v4
	s_wait_alu 0xfffe
	s_cbranch_vccnz .LBB0_9
; %bb.7:                                ;   in Loop: Header=BB0_2 Depth=1
	v_dual_mov_b32 v5, v7 :: v_dual_mov_b32 v6, v8
	s_branch .LBB0_2
.LBB0_8:
	v_dual_mov_b32 v8, v6 :: v_dual_mov_b32 v7, v5
.LBB0_9:
	s_lshl_b64 s[2:3], s[6:7], 3
	v_mul_hi_u32 v3, 0x25ed098, v0
	s_wait_alu 0xfffe
	s_add_nc_u64 s[2:3], s[10:11], s[2:3]
	s_load_b64 s[2:3], s[2:3], 0x0
	s_load_b64 s[0:1], s[0:1], 0x20
	s_delay_alu instid0(VALU_DEP_1) | instskip(NEXT) | instid1(VALU_DEP_1)
	v_mul_u32_u24_e32 v3, 0x6c, v3
	v_sub_nc_u32_e32 v0, v0, v3
	s_wait_kmcnt 0x0
	v_mul_lo_u32 v4, s2, v8
	v_mul_lo_u32 v5, s3, v7
	v_mad_co_u64_u32 v[1:2], null, s2, v7, v[1:2]
	v_cmp_gt_u64_e32 vcc_lo, s[0:1], v[7:8]
	v_cmp_le_u64_e64 s0, s[0:1], v[7:8]
	s_delay_alu instid0(VALU_DEP_3) | instskip(SKIP_1) | instid1(VALU_DEP_3)
	v_add3_u32 v2, v5, v2, v4
	v_add_nc_u32_e32 v4, 0x6c, v0
	s_and_saveexec_b32 s1, s0
	s_wait_alu 0xfffe
	s_xor_b32 s0, exec_lo, s1
; %bb.10:
	v_add_nc_u32_e32 v4, 0x6c, v0
; %bb.11:
	s_wait_alu 0xfffe
	s_or_saveexec_b32 s1, s0
	v_lshlrev_b64_e32 v[2:3], 3, v[1:2]
	s_wait_alu 0xfffe
	s_xor_b32 exec_lo, exec_lo, s1
	s_cbranch_execz .LBB0_13
; %bb.12:
	v_mov_b32_e32 v1, 0
	s_delay_alu instid0(VALU_DEP_1) | instskip(SKIP_3) | instid1(VALU_DEP_2)
	v_lshlrev_b64_e32 v[5:6], 3, v[0:1]
	v_add_co_u32 v1, s0, s8, v2
	s_wait_alu 0xf1ff
	v_add_co_ci_u32_e64 v7, s0, s9, v3, s0
	v_add_co_u32 v5, s0, v1, v5
	s_wait_alu 0xf1ff
	s_delay_alu instid0(VALU_DEP_2)
	v_add_co_ci_u32_e64 v6, s0, v7, v6, s0
	v_lshl_add_u32 v1, v0, 3, 0
	s_clause 0xb
	global_load_b64 v[7:8], v[5:6], off
	global_load_b64 v[9:10], v[5:6], off offset:864
	global_load_b64 v[11:12], v[5:6], off offset:1728
	;; [unrolled: 1-line block ×11, first 2 shown]
	v_add_nc_u32_e32 v29, 0x400, v1
	v_add_nc_u32_e32 v30, 0xc00, v1
	v_add_nc_u32_e32 v31, 0x1000, v1
	v_add_nc_u32_e32 v32, 0x1800, v1
	v_add_nc_u32_e32 v33, 0x2000, v1
	s_wait_loadcnt 0xa
	ds_store_2addr_b64 v1, v[7:8], v[9:10] offset1:108
	s_wait_loadcnt 0x8
	ds_store_2addr_b64 v29, v[11:12], v[13:14] offset0:88 offset1:196
	s_wait_loadcnt 0x6
	ds_store_2addr_b64 v30, v[15:16], v[17:18] offset0:48 offset1:156
	;; [unrolled: 2-line block ×5, first 2 shown]
.LBB0_13:
	s_or_b32 exec_lo, exec_lo, s1
	v_lshlrev_b32_e32 v1, 3, v0
	global_wb scope:SCOPE_SE
	s_wait_dscnt 0x0
	s_barrier_signal -1
	s_barrier_wait -1
	global_inv scope:SCOPE_SE
	v_add_nc_u32_e32 v13, 0, v1
	s_mov_b32 s1, exec_lo
	ds_load_2addr_b64 v[8:11], v13 offset1:108
	v_add_nc_u32_e32 v5, 0xc00, v13
	v_add_nc_u32_e32 v6, 0x1800, v13
	ds_load_2addr_b64 v[14:17], v5 offset0:48 offset1:156
	ds_load_2addr_b64 v[18:21], v6 offset0:96 offset1:204
	v_add_nc_u32_e32 v12, 0x400, v13
	v_add_nc_u32_e32 v7, 0x1000, v13
	;; [unrolled: 1-line block ×3, first 2 shown]
	ds_load_2addr_b64 v[22:25], v12 offset0:88 offset1:196
	ds_load_2addr_b64 v[26:29], v7 offset0:136 offset1:244
	;; [unrolled: 1-line block ×3, first 2 shown]
	global_wb scope:SCOPE_SE
	s_wait_dscnt 0x0
	s_barrier_signal -1
	s_barrier_wait -1
	global_inv scope:SCOPE_SE
	v_add_f32_e32 v5, v8, v14
	v_add_f32_e32 v6, v14, v18
	;; [unrolled: 1-line block ×3, first 2 shown]
	v_sub_f32_e32 v12, v15, v19
	v_dual_add_f32 v15, v15, v19 :: v_dual_sub_f32 v14, v14, v18
	v_dual_add_f32 v35, v22, v26 :: v_dual_add_f32 v38, v23, v27
	v_sub_f32_e32 v37, v27, v31
	v_dual_add_f32 v27, v27, v31 :: v_dual_add_f32 v18, v5, v18
	v_add_f32_e32 v36, v26, v30
	v_dual_sub_f32 v26, v26, v30 :: v_dual_add_f32 v39, v16, v20
	v_add_f32_e32 v34, v34, v19
	v_fma_f32 v40, -0.5, v6, v8
	v_fma_f32 v19, -0.5, v27, v23
	;; [unrolled: 1-line block ×4, first 2 shown]
	v_dual_add_f32 v8, v35, v30 :: v_dual_add_f32 v31, v38, v31
	v_fmamk_f32 v27, v12, 0x3f5db3d7, v40
	v_dual_fmac_f32 v40, 0xbf5db3d7, v12 :: v_dual_fmamk_f32 v23, v26, 0xbf5db3d7, v19
	s_delay_alu instid0(VALU_DEP_4)
	v_fmamk_f32 v22, v37, 0x3f5db3d7, v9
	v_fmamk_f32 v12, v14, 0xbf5db3d7, v15
	v_fmac_f32_e32 v15, 0x3f5db3d7, v14
	v_fmac_f32_e32 v19, 0x3f5db3d7, v26
	;; [unrolled: 1-line block ×3, first 2 shown]
	v_dual_mul_f32 v14, 0x3f5db3d7, v23 :: v_dual_add_f32 v5, v18, v8
	s_delay_alu instid0(VALU_DEP_3) | instskip(NEXT) | instid1(VALU_DEP_3)
	v_dual_mul_f32 v35, 0xbf5db3d7, v22 :: v_dual_mul_f32 v36, -0.5, v19
	v_mul_f32_e32 v30, -0.5, v9
	s_delay_alu instid0(VALU_DEP_2) | instskip(NEXT) | instid1(VALU_DEP_3)
	v_dual_fmac_f32 v14, 0.5, v22 :: v_dual_fmac_f32 v35, 0.5, v23
	v_fmac_f32_e32 v36, 0xbf5db3d7, v9
	s_delay_alu instid0(VALU_DEP_3) | instskip(SKIP_1) | instid1(VALU_DEP_4)
	v_fmac_f32_e32 v30, 0x3f5db3d7, v19
	v_sub_f32_e32 v8, v18, v8
	v_dual_add_f32 v18, v27, v14 :: v_dual_sub_f32 v9, v34, v31
	v_dual_sub_f32 v26, v27, v14 :: v_dual_sub_f32 v27, v12, v35
	v_add_f32_e32 v14, v10, v16
	v_dual_add_f32 v6, v34, v31 :: v_dual_add_f32 v23, v15, v36
	v_add_f32_e32 v19, v12, v35
	v_fma_f32 v10, -0.5, v39, v10
	v_sub_f32_e32 v31, v15, v36
	v_add_f32_e32 v12, v14, v20
	v_add_f32_e32 v14, v17, v21
	v_sub_f32_e32 v34, v17, v21
	v_add_f32_e32 v22, v40, v30
	v_dual_sub_f32 v30, v40, v30 :: v_dual_add_f32 v15, v11, v17
	v_add_f32_e32 v17, v29, v33
	v_dual_fmac_f32 v11, -0.5, v14 :: v_dual_sub_f32 v14, v16, v20
	v_dual_add_f32 v20, v25, v29 :: v_dual_fmamk_f32 v35, v34, 0x3f5db3d7, v10
	s_delay_alu instid0(VALU_DEP_3) | instskip(SKIP_3) | instid1(VALU_DEP_3)
	v_fmac_f32_e32 v25, -0.5, v17
	v_dual_sub_f32 v17, v28, v32 :: v_dual_fmac_f32 v10, 0xbf5db3d7, v34
	v_add_f32_e32 v34, v15, v21
	v_sub_f32_e32 v15, v29, v33
	v_dual_fmamk_f32 v21, v17, 0xbf5db3d7, v25 :: v_dual_add_f32 v16, v28, v32
	v_fmamk_f32 v36, v14, 0xbf5db3d7, v11
	v_fmac_f32_e32 v11, 0x3f5db3d7, v14
	v_fmac_f32_e32 v25, 0x3f5db3d7, v17
	v_add_f32_e32 v17, v20, v33
	v_fma_f32 v16, -0.5, v16, v24
	v_dual_add_f32 v24, v24, v28 :: v_dual_mul_f32 v29, 0x3f5db3d7, v21
	s_delay_alu instid0(VALU_DEP_2) | instskip(NEXT) | instid1(VALU_DEP_1)
	v_dual_mul_f32 v37, -0.5, v25 :: v_dual_fmamk_f32 v14, v15, 0x3f5db3d7, v16
	v_dual_fmac_f32 v16, 0xbf5db3d7, v15 :: v_dual_fmac_f32 v29, 0.5, v14
	s_delay_alu instid0(VALU_DEP_1) | instskip(NEXT) | instid1(VALU_DEP_4)
	v_mul_f32_e32 v33, -0.5, v16
	v_add_f32_e32 v28, v24, v32
	s_delay_alu instid0(VALU_DEP_4) | instskip(NEXT) | instid1(VALU_DEP_4)
	v_dual_fmac_f32 v37, 0xbf5db3d7, v16 :: v_dual_add_f32 v16, v34, v17
	v_add_f32_e32 v20, v35, v29
	s_delay_alu instid0(VALU_DEP_4) | instskip(NEXT) | instid1(VALU_DEP_4)
	v_fmac_f32_e32 v33, 0x3f5db3d7, v25
	v_dual_mul_f32 v14, 0xbf5db3d7, v14 :: v_dual_add_f32 v15, v12, v28
	v_sub_f32_e32 v32, v35, v29
	v_dual_sub_f32 v29, v34, v17 :: v_dual_and_b32 v34, 0xff, v4
	s_delay_alu instid0(VALU_DEP_3) | instskip(SKIP_2) | instid1(VALU_DEP_4)
	v_fmac_f32_e32 v14, 0.5, v21
	v_dual_add_f32 v25, v11, v37 :: v_dual_and_b32 v38, 0xff, v0
	v_sub_f32_e32 v28, v12, v28
	v_mul_lo_u16 v17, 0xab, v34
	s_delay_alu instid0(VALU_DEP_4) | instskip(NEXT) | instid1(VALU_DEP_4)
	v_add_f32_e32 v21, v36, v14
	v_mul_lo_u16 v39, 0xab, v38
	v_add_f32_e32 v24, v10, v33
	v_dual_sub_f32 v10, v10, v33 :: v_dual_sub_f32 v33, v36, v14
	v_sub_f32_e32 v11, v11, v37
	s_delay_alu instid0(VALU_DEP_4)
	v_lshrrev_b16 v12, 10, v39
	v_mul_i32_i24_e32 v35, 6, v4
	v_lshrrev_b16 v37, 10, v17
	v_mad_u32_u24 v17, v0, 40, v13
	ds_store_2addr_b64 v17, v[5:6], v[18:19] offset1:1
	ds_store_2addr_b64 v17, v[22:23], v[8:9] offset0:2 offset1:3
	ds_store_2addr_b64 v17, v[26:27], v[30:31] offset0:4 offset1:5
	v_mul_lo_u16 v14, v12, 6
	s_delay_alu instid0(VALU_DEP_1) | instskip(SKIP_2) | instid1(VALU_DEP_3)
	v_sub_nc_u16 v36, v0, v14
	v_lshl_add_u32 v14, v35, 3, 0
	v_mul_lo_u16 v35, v37, 6
	v_and_b32_e32 v39, 0xff, v36
	s_delay_alu instid0(VALU_DEP_2) | instskip(NEXT) | instid1(VALU_DEP_2)
	v_sub_nc_u16 v6, v4, v35
	v_mul_u32_u24_e32 v5, 5, v39
	s_delay_alu instid0(VALU_DEP_2) | instskip(NEXT) | instid1(VALU_DEP_2)
	v_and_b32_e32 v8, 0xff, v6
	v_lshlrev_b32_e32 v5, 3, v5
	s_delay_alu instid0(VALU_DEP_2) | instskip(SKIP_2) | instid1(VALU_DEP_3)
	v_mul_u32_u24_e32 v6, 5, v8
	v_lshlrev_b32_e32 v55, 3, v8
	v_mad_i32_i24 v8, 0xffffffd8, v4, v14
	v_lshlrev_b32_e32 v9, 3, v6
	ds_store_2addr_b64 v14, v[15:16], v[20:21] offset1:1
	ds_store_2addr_b64 v14, v[24:25], v[28:29] offset0:2 offset1:3
	ds_store_2addr_b64 v14, v[32:33], v[10:11] offset0:4 offset1:5
	global_wb scope:SCOPE_SE
	s_wait_dscnt 0x0
	s_barrier_signal -1
	s_barrier_wait -1
	global_inv scope:SCOPE_SE
	s_clause 0x5
	global_load_b128 v[15:18], v5, s[4:5]
	global_load_b128 v[19:22], v5, s[4:5] offset:16
	global_load_b64 v[5:6], v5, s[4:5] offset:32
	global_load_b128 v[23:26], v9, s[4:5]
	global_load_b128 v[27:30], v9, s[4:5] offset:16
	global_load_b64 v[51:52], v9, s[4:5] offset:32
	v_mul_lo_u16 v10, v34, 57
	v_mul_lo_u16 v9, v38, 57
	v_and_b32_e32 v32, 0xffff, v37
	v_lshlrev_b32_e32 v54, 3, v39
	ds_load_2addr_b64 v[39:42], v7 offset0:28 offset1:136
	v_lshrrev_b16 v58, 11, v10
	v_lshrrev_b16 v57, 11, v9
	v_add_nc_u32_e32 v9, 0x800, v13
	v_add_nc_u32_e32 v10, 0x1400, v13
	s_delay_alu instid0(VALU_DEP_4) | instskip(NEXT) | instid1(VALU_DEP_4)
	v_mul_lo_u16 v31, v58, 36
	v_mul_lo_u16 v11, v57, 36
	ds_load_2addr_b64 v[43:46], v10 offset0:116 offset1:224
	v_sub_nc_u16 v35, v4, v31
	v_sub_nc_u16 v33, v0, v11
	v_add_nc_u32_e32 v11, 0x1c00, v13
	s_delay_alu instid0(VALU_DEP_3)
	v_and_b32_e32 v60, 0xff, v35
	ds_load_2addr_b64 v[35:38], v9 offset0:68 offset1:176
	s_wait_loadcnt_dscnt 0x200
	v_mul_f32_e32 v69, v36, v24
	s_wait_loadcnt 0x1
	v_mul_f32_e32 v71, v44, v28
	v_mul_u32_u24_e32 v53, 0x120, v32
	v_mul_f32_e32 v66, v20, v42
	ds_load_2addr_b64 v[47:50], v11 offset0:76 offset1:184
	v_and_b32_e32 v59, 0xff, v33
	ds_load_2addr_b64 v[31:34], v13 offset1:216
	v_and_b32_e32 v12, 0xffff, v12
	v_add3_u32 v62, 0, v53, v55
	v_mul_f32_e32 v67, v22, v46
	v_mul_u32_u24_e32 v61, 5, v60
	s_wait_dscnt 0x1
	v_mul_f32_e32 v68, v6, v50
	v_mul_u32_u24_e32 v56, 5, v59
	s_wait_dscnt 0x0
	v_mul_f32_e32 v65, v16, v33
	v_mul_u32_u24_e32 v12, 0x120, v12
	v_mul_f32_e32 v64, v16, v34
	v_dual_mul_f32 v16, v18, v38 :: v_dual_lshlrev_b32 v63, 3, v56
	s_delay_alu instid0(VALU_DEP_4) | instskip(NEXT) | instid1(VALU_DEP_4)
	v_dual_mul_f32 v18, v18, v37 :: v_dual_fmac_f32 v65, v15, v34
	v_add3_u32 v12, 0, v12, v54
	ds_load_b64 v[53:54], v8
	ds_load_b64 v[55:56], v13 offset:9504
	v_fma_f32 v33, v15, v33, -v64
	v_fma_f32 v15, v17, v37, -v16
	v_mul_f32_e32 v20, v20, v41
	v_fma_f32 v16, v19, v41, -v66
	v_mul_f32_e32 v22, v22, v45
	v_fmac_f32_e32 v18, v17, v38
	v_fma_f32 v17, v21, v45, -v67
	v_fmac_f32_e32 v20, v19, v42
	v_fma_f32 v19, v5, v49, -v68
	v_add_f32_e32 v37, v33, v16
	v_fmac_f32_e32 v22, v21, v46
	v_mul_f32_e32 v24, v35, v24
	v_fma_f32 v21, v35, v23, -v69
	v_add_f32_e32 v38, v16, v19
	v_mul_f32_e32 v70, v40, v26
	s_delay_alu instid0(VALU_DEP_4) | instskip(SKIP_1) | instid1(VALU_DEP_4)
	v_dual_sub_f32 v35, v18, v22 :: v_dual_fmac_f32 v24, v36, v23
	v_fma_f32 v23, v43, v27, -v71
	v_dual_fmac_f32 v33, -0.5, v38 :: v_dual_mul_f32 v6, v6, v49
	s_wait_loadcnt_dscnt 0x0
	v_mul_f32_e32 v73, v56, v52
	v_sub_f32_e32 v16, v16, v19
	global_wb scope:SCOPE_SE
	s_barrier_signal -1
	v_fmac_f32_e32 v6, v5, v50
	v_mul_f32_e32 v28, v43, v28
	v_fma_f32 v5, v39, v25, -v70
	v_mul_f32_e32 v26, v39, v26
	v_mul_f32_e32 v72, v48, v30
	v_sub_f32_e32 v39, v20, v6
	v_fmac_f32_e32 v28, v44, v27
	v_fma_f32 v27, v55, v51, -v73
	v_add_f32_e32 v41, v53, v5
	v_add_f32_e32 v34, v15, v17
	s_barrier_wait -1
	global_inv scope:SCOPE_SE
	v_add_f32_e32 v46, v23, v27
	v_fmac_f32_e32 v26, v40, v25
	v_fma_f32 v25, v47, v29, -v72
	s_delay_alu instid0(VALU_DEP_1) | instskip(SKIP_4) | instid1(VALU_DEP_2)
	v_dual_add_f32 v42, v5, v25 :: v_dual_lshlrev_b32 v59, 3, v59
	v_sub_f32_e32 v45, v5, v25
	v_add_f32_e32 v5, v21, v23
	v_dual_fmac_f32 v21, -0.5, v46 :: v_dual_mul_f32 v52, v55, v52
	v_sub_f32_e32 v23, v23, v27
	v_fmac_f32_e32 v52, v56, v51
	s_delay_alu instid0(VALU_DEP_1) | instskip(NEXT) | instid1(VALU_DEP_1)
	v_dual_mul_f32 v30, v47, v30 :: v_dual_sub_f32 v47, v28, v52
	v_dual_fmac_f32 v30, v48, v29 :: v_dual_add_f32 v29, v31, v15
	v_dual_sub_f32 v15, v15, v17 :: v_dual_add_f32 v48, v24, v28
	v_add_f32_e32 v28, v28, v52
	s_delay_alu instid0(VALU_DEP_3) | instskip(SKIP_2) | instid1(VALU_DEP_4)
	v_dual_add_f32 v44, v54, v26 :: v_dual_add_f32 v17, v29, v17
	v_fma_f32 v29, -0.5, v34, v31
	v_add_f32_e32 v36, v32, v18
	v_fmac_f32_e32 v24, -0.5, v28
	s_delay_alu instid0(VALU_DEP_3)
	v_fmamk_f32 v28, v35, 0x3f5db3d7, v29
	v_fmac_f32_e32 v29, 0xbf5db3d7, v35
	v_sub_f32_e32 v43, v26, v30
	v_add_f32_e32 v26, v26, v30
	v_add_f32_e32 v40, v65, v20
	v_fmamk_f32 v38, v23, 0xbf5db3d7, v24
	s_delay_alu instid0(VALU_DEP_3) | instskip(SKIP_2) | instid1(VALU_DEP_1)
	v_fmac_f32_e32 v54, -0.5, v26
	v_dual_add_f32 v26, v5, v27 :: v_dual_add_f32 v27, v48, v52
	v_add_f32_e32 v20, v20, v6
	v_dual_fmac_f32 v65, -0.5, v20 :: v_dual_add_f32 v18, v18, v22
	s_delay_alu instid0(VALU_DEP_1) | instskip(SKIP_2) | instid1(VALU_DEP_2)
	v_fma_f32 v31, -0.5, v18, v32
	v_fmamk_f32 v32, v39, 0x3f5db3d7, v33
	v_fmac_f32_e32 v33, 0xbf5db3d7, v39
	v_mul_f32_e32 v39, 0xbf5db3d7, v32
	v_dual_fmamk_f32 v35, v16, 0xbf5db3d7, v65 :: v_dual_add_f32 v20, v41, v25
	v_fma_f32 v34, -0.5, v42, v53
	v_dual_add_f32 v25, v44, v30 :: v_dual_fmamk_f32 v30, v15, 0xbf5db3d7, v31
	v_dual_fmac_f32 v31, 0x3f5db3d7, v15 :: v_dual_add_f32 v22, v36, v22
	s_delay_alu instid0(VALU_DEP_4) | instskip(SKIP_4) | instid1(VALU_DEP_4)
	v_fmac_f32_e32 v39, 0.5, v35
	v_dual_add_f32 v18, v37, v19 :: v_dual_add_f32 v19, v40, v6
	v_dual_fmac_f32 v65, 0x3f5db3d7, v16 :: v_dual_fmamk_f32 v36, v43, 0x3f5db3d7, v34
	v_mul_f32_e32 v41, 0x3f5db3d7, v38
	v_fmac_f32_e32 v34, 0xbf5db3d7, v43
	v_add_f32_e32 v6, v22, v19
	v_sub_f32_e32 v16, v22, v19
	v_fmamk_f32 v22, v47, 0x3f5db3d7, v21
	v_dual_fmac_f32 v21, 0xbf5db3d7, v47 :: v_dual_mul_f32 v40, -0.5, v65
	s_delay_alu instid0(VALU_DEP_2)
	v_mul_f32_e32 v43, 0xbf5db3d7, v22
	v_fmac_f32_e32 v41, 0.5, v22
	v_sub_f32_e32 v19, v20, v26
	v_add_f32_e32 v5, v17, v18
	v_sub_f32_e32 v15, v17, v18
	v_dual_add_f32 v17, v20, v26 :: v_dual_mul_f32 v26, -0.5, v33
	v_add_f32_e32 v18, v25, v27
	v_sub_f32_e32 v20, v25, v27
	v_mul_f32_e32 v25, 0x3f5db3d7, v35
	v_dual_fmac_f32 v43, 0.5, v38 :: v_dual_fmac_f32 v24, 0x3f5db3d7, v23
	v_fmac_f32_e32 v26, 0x3f5db3d7, v65
	v_mul_f32_e32 v42, -0.5, v21
	v_fmac_f32_e32 v40, 0xbf5db3d7, v33
	s_delay_alu instid0(VALU_DEP_3) | instskip(SKIP_1) | instid1(VALU_DEP_4)
	v_dual_mul_f32 v44, -0.5, v24 :: v_dual_sub_f32 v27, v29, v26
	v_fmac_f32_e32 v25, 0.5, v32
	v_dual_fmac_f32 v42, 0x3f5db3d7, v24 :: v_dual_add_f32 v23, v29, v26
	s_delay_alu instid0(VALU_DEP_3) | instskip(NEXT) | instid1(VALU_DEP_3)
	v_fmac_f32_e32 v44, 0xbf5db3d7, v21
	v_dual_add_f32 v24, v31, v40 :: v_dual_add_f32 v21, v28, v25
	v_fmamk_f32 v37, v45, 0xbf5db3d7, v54
	s_delay_alu instid0(VALU_DEP_4)
	v_dual_fmac_f32 v54, 0x3f5db3d7, v45 :: v_dual_sub_f32 v35, v34, v42
	v_dual_sub_f32 v25, v28, v25 :: v_dual_add_f32 v22, v30, v39
	v_sub_f32_e32 v26, v30, v39
	v_dual_sub_f32 v28, v31, v40 :: v_dual_add_f32 v31, v34, v42
	v_dual_add_f32 v29, v36, v41 :: v_dual_add_f32 v30, v37, v43
	v_dual_add_f32 v32, v54, v44 :: v_dual_sub_f32 v33, v36, v41
	v_sub_f32_e32 v34, v37, v43
	v_dual_sub_f32 v36, v54, v44 :: v_dual_and_b32 v39, 0xffff, v58
	ds_store_2addr_b64 v12, v[5:6], v[21:22] offset1:6
	ds_store_2addr_b64 v12, v[23:24], v[15:16] offset0:12 offset1:18
	ds_store_2addr_b64 v12, v[25:26], v[27:28] offset0:24 offset1:30
	ds_store_2addr_b64 v62, v[17:18], v[29:30] offset1:6
	ds_store_2addr_b64 v62, v[31:32], v[19:20] offset0:12 offset1:18
	ds_store_2addr_b64 v62, v[33:34], v[35:36] offset0:24 offset1:30
	v_lshlrev_b32_e32 v5, 3, v61
	global_wb scope:SCOPE_SE
	s_wait_dscnt 0x0
	s_barrier_signal -1
	s_barrier_wait -1
	global_inv scope:SCOPE_SE
	s_clause 0x5
	global_load_b128 v[15:18], v63, s[4:5] offset:240
	global_load_b128 v[19:22], v63, s[4:5] offset:256
	global_load_b64 v[51:52], v63, s[4:5] offset:272
	global_load_b128 v[23:26], v5, s[4:5] offset:240
	global_load_b128 v[27:30], v5, s[4:5] offset:256
	global_load_b64 v[53:54], v5, s[4:5] offset:272
	v_and_b32_e32 v35, 0xffff, v57
	v_mul_u32_u24_e32 v58, 0x6c0, v39
	ds_load_2addr_b64 v[39:42], v7 offset0:28 offset1:136
	ds_load_2addr_b64 v[43:46], v10 offset0:116 offset1:224
	;; [unrolled: 1-line block ×3, first 2 shown]
	v_mul_u32_u24_e32 v57, 0x6c0, v35
	ds_load_2addr_b64 v[35:38], v9 offset0:68 offset1:176
	ds_load_2addr_b64 v[31:34], v13 offset1:216
	v_mul_i32_i24_e32 v5, 5, v4
	v_mul_u32_u24_e32 v12, 5, v0
	s_wait_loadcnt_dscnt 0x302
	v_mul_f32_e32 v66, v52, v50
	v_mul_f32_e32 v52, v52, v49
	;; [unrolled: 1-line block ×4, first 2 shown]
	s_wait_loadcnt_dscnt 0x201
	v_mul_f32_e32 v67, v36, v24
	v_mul_f32_e32 v24, v35, v24
	s_wait_loadcnt 0x1
	v_mul_f32_e32 v69, v44, v28
	s_wait_dscnt 0x0
	v_dual_mul_f32 v28, v43, v28 :: v_dual_mul_f32 v63, v16, v33
	v_mul_f32_e32 v68, v40, v26
	v_mul_f32_e32 v26, v39, v26
	v_fmac_f32_e32 v20, v19, v42
	v_fmac_f32_e32 v52, v51, v50
	v_mul_f32_e32 v62, v16, v34
	v_mul_f32_e32 v16, v18, v38
	v_fmac_f32_e32 v24, v36, v23
	v_dual_fmac_f32 v28, v44, v27 :: v_dual_mul_f32 v65, v22, v46
	v_mul_f32_e32 v70, v48, v30
	v_mul_f32_e32 v30, v47, v30
	v_fma_f32 v33, v15, v33, -v62
	v_fmac_f32_e32 v63, v15, v34
	v_fma_f32 v15, v17, v37, -v16
	v_fma_f32 v16, v19, v41, -v64
	;; [unrolled: 1-line block ×3, first 2 shown]
	v_fmac_f32_e32 v26, v40, v25
	v_sub_f32_e32 v40, v20, v52
	v_dual_mul_f32 v22, v22, v45 :: v_dual_add_f32 v49, v24, v28
	v_mul_f32_e32 v18, v18, v37
	v_fma_f32 v34, v35, v23, -v67
	v_fma_f32 v23, v43, v27, -v69
	v_mov_b32_e32 v6, 0
	v_fmac_f32_e32 v22, v21, v46
	v_fmac_f32_e32 v18, v17, v38
	v_fma_f32 v17, v21, v45, -v65
	v_fma_f32 v21, v39, v25, -v68
	;; [unrolled: 1-line block ×3, first 2 shown]
	v_dual_fmac_f32 v30, v48, v29 :: v_dual_add_f32 v29, v31, v15
	v_lshlrev_b32_e32 v60, 3, v60
	v_lshlrev_b64_e32 v[55:56], 3, v[5:6]
	v_add3_u32 v5, 0, v57, v59
	v_add_f32_e32 v35, v15, v17
	v_sub_f32_e32 v15, v15, v17
	v_add_f32_e32 v17, v29, v17
	v_add3_u32 v61, 0, v58, v60
	ds_load_b64 v[57:58], v8
	ds_load_b64 v[59:60], v13 offset:9504
	v_sub_f32_e32 v44, v26, v30
	v_add_f32_e32 v46, v34, v23
	v_add_f32_e32 v39, v16, v19
	v_dual_add_f32 v43, v21, v25 :: v_dual_lshlrev_b32 v12, 3, v12
	v_sub_f32_e32 v36, v18, v22
	v_dual_add_f32 v37, v32, v18 :: v_dual_add_f32 v38, v33, v16
	v_fma_f32 v29, -0.5, v35, v31
	v_fmac_f32_e32 v33, -0.5, v39
	v_add_f32_e32 v41, v63, v20
	global_wb scope:SCOPE_SE
	s_wait_loadcnt_dscnt 0x0
	s_barrier_signal -1
	s_barrier_wait -1
	v_fmamk_f32 v35, v40, 0x3f5db3d7, v33
	v_fmac_f32_e32 v33, 0xbf5db3d7, v40
	global_inv scope:SCOPE_SE
	v_dual_add_f32 v42, v57, v21 :: v_dual_mul_f32 v71, v60, v54
	v_mul_f32_e32 v54, v59, v54
	v_add_f32_e32 v45, v58, v26
	v_dual_add_f32 v26, v26, v30 :: v_dual_sub_f32 v21, v21, v25
	s_delay_alu instid0(VALU_DEP_4) | instskip(NEXT) | instid1(VALU_DEP_4)
	v_fma_f32 v27, v59, v53, -v71
	v_fmac_f32_e32 v54, v60, v53
	s_delay_alu instid0(VALU_DEP_3) | instskip(SKIP_1) | instid1(VALU_DEP_4)
	v_dual_add_f32 v25, v42, v25 :: v_dual_fmac_f32 v58, -0.5, v26
	v_mul_f32_e32 v42, 0xbf5db3d7, v35
	v_add_f32_e32 v26, v46, v27
	v_add_f32_e32 v47, v23, v27
	v_sub_f32_e32 v23, v23, v27
	v_fmamk_f32 v39, v21, 0xbf5db3d7, v58
	s_delay_alu instid0(VALU_DEP_4) | instskip(SKIP_3) | instid1(VALU_DEP_2)
	v_dual_fmac_f32 v58, 0x3f5db3d7, v21 :: v_dual_sub_f32 v21, v25, v26
	v_sub_f32_e32 v48, v28, v54
	v_add_f32_e32 v28, v28, v54
	v_dual_fmac_f32 v34, -0.5, v47 :: v_dual_add_f32 v27, v49, v54
	v_fmac_f32_e32 v24, -0.5, v28
	v_fmamk_f32 v28, v36, 0x3f5db3d7, v29
	v_add_f32_e32 v18, v18, v22
	v_add_f32_e32 v22, v37, v22
	v_fma_f32 v37, -0.5, v43, v57
	v_fmamk_f32 v40, v48, 0x3f5db3d7, v34
	v_fmac_f32_e32 v34, 0xbf5db3d7, v48
	v_fma_f32 v31, -0.5, v18, v32
	v_add_f32_e32 v18, v38, v19
	v_fmamk_f32 v38, v44, 0x3f5db3d7, v37
	v_dual_sub_f32 v16, v16, v19 :: v_dual_add_f32 v19, v41, v52
	v_fmamk_f32 v41, v23, 0xbf5db3d7, v24
	v_fmac_f32_e32 v24, 0x3f5db3d7, v23
	v_fmac_f32_e32 v37, 0xbf5db3d7, v44
	;; [unrolled: 1-line block ×3, first 2 shown]
	v_fmamk_f32 v32, v15, 0xbf5db3d7, v31
	v_fmac_f32_e32 v31, 0x3f5db3d7, v15
	v_mul_f32_e32 v47, -0.5, v24
	v_add_f32_e32 v15, v17, v18
	v_dual_sub_f32 v17, v17, v18 :: v_dual_sub_f32 v18, v22, v19
	v_mul_f32_e32 v44, 0x3f5db3d7, v41
	s_delay_alu instid0(VALU_DEP_4) | instskip(SKIP_2) | instid1(VALU_DEP_4)
	v_fmac_f32_e32 v47, 0xbf5db3d7, v34
	v_add_f32_e32 v30, v45, v30
	v_dual_mul_f32 v45, -0.5, v34 :: v_dual_mul_f32 v46, 0xbf5db3d7, v40
	v_fmac_f32_e32 v44, 0.5, v40
	s_delay_alu instid0(VALU_DEP_2) | instskip(SKIP_1) | instid1(VALU_DEP_1)
	v_dual_add_f32 v34, v58, v47 :: v_dual_fmac_f32 v45, 0x3f5db3d7, v24
	v_add_f32_e32 v20, v20, v52
	v_dual_fmac_f32 v46, 0.5, v41 :: v_dual_fmac_f32 v63, -0.5, v20
	v_add_f32_e32 v20, v30, v27
	s_delay_alu instid0(VALU_DEP_2) | instskip(SKIP_2) | instid1(VALU_DEP_3)
	v_fmamk_f32 v36, v16, 0xbf5db3d7, v63
	v_dual_fmac_f32 v63, 0x3f5db3d7, v16 :: v_dual_add_f32 v16, v22, v19
	v_sub_f32_e32 v22, v30, v27
	v_dual_mul_f32 v30, -0.5, v33 :: v_dual_mul_f32 v27, 0x3f5db3d7, v36
	s_delay_alu instid0(VALU_DEP_3) | instskip(NEXT) | instid1(VALU_DEP_2)
	v_dual_mul_f32 v43, -0.5, v63 :: v_dual_fmac_f32 v42, 0.5, v36
	v_dual_add_f32 v19, v25, v26 :: v_dual_fmac_f32 v30, 0x3f5db3d7, v63
	s_delay_alu instid0(VALU_DEP_3) | instskip(NEXT) | instid1(VALU_DEP_3)
	v_fmac_f32_e32 v27, 0.5, v35
	v_dual_fmac_f32 v43, 0xbf5db3d7, v33 :: v_dual_add_f32 v24, v32, v42
	v_add_f32_e32 v33, v37, v45
	s_delay_alu instid0(VALU_DEP_4) | instskip(NEXT) | instid1(VALU_DEP_4)
	v_add_f32_e32 v25, v29, v30
	v_add_f32_e32 v23, v28, v27
	s_delay_alu instid0(VALU_DEP_4)
	v_add_f32_e32 v26, v31, v43
	v_sub_f32_e32 v27, v28, v27
	v_sub_f32_e32 v29, v29, v30
	;; [unrolled: 1-line block ×3, first 2 shown]
	v_dual_sub_f32 v30, v31, v43 :: v_dual_add_f32 v31, v38, v44
	v_dual_add_f32 v32, v39, v46 :: v_dual_sub_f32 v35, v38, v44
	v_dual_sub_f32 v37, v37, v45 :: v_dual_sub_f32 v36, v39, v46
	v_sub_f32_e32 v38, v58, v47
	ds_store_2addr_b64 v5, v[15:16], v[23:24] offset1:36
	ds_store_2addr_b64 v5, v[25:26], v[17:18] offset0:72 offset1:108
	ds_store_2addr_b64 v5, v[27:28], v[29:30] offset0:144 offset1:180
	ds_store_2addr_b64 v61, v[19:20], v[31:32] offset1:36
	ds_store_2addr_b64 v61, v[33:34], v[21:22] offset0:72 offset1:108
	ds_store_2addr_b64 v61, v[35:36], v[37:38] offset0:144 offset1:180
	v_add_co_u32 v31, s0, s4, v55
	global_wb scope:SCOPE_SE
	s_wait_dscnt 0x0
	s_barrier_signal -1
	s_barrier_wait -1
	global_inv scope:SCOPE_SE
	s_clause 0x1
	global_load_b128 v[15:18], v12, s[4:5] offset:1680
	global_load_b128 v[19:22], v12, s[4:5] offset:1696
	s_wait_alu 0xf1ff
	v_add_co_ci_u32_e64 v32, s0, s5, v56, s0
	s_clause 0x3
	global_load_b64 v[47:48], v12, s[4:5] offset:1712
	global_load_b128 v[23:26], v[31:32], off offset:1680
	global_load_b128 v[27:30], v[31:32], off offset:1696
	global_load_b64 v[49:50], v[31:32], off offset:1712
	ds_load_2addr_b64 v[31:34], v13 offset1:216
	ds_load_2addr_b64 v[35:38], v9 offset0:68 offset1:176
	ds_load_2addr_b64 v[39:42], v7 offset0:28 offset1:136
	;; [unrolled: 1-line block ×4, first 2 shown]
	ds_load_b64 v[51:52], v8
	ds_load_b64 v[53:54], v13 offset:9504
	v_add_nc_u32_e32 v5, 0xd00, v13
	v_add_nc_u32_e32 v7, 0x1a00, v13
	;; [unrolled: 1-line block ×3, first 2 shown]
	global_wb scope:SCOPE_SE
	s_wait_loadcnt_dscnt 0x0
	s_barrier_signal -1
	s_barrier_wait -1
	global_inv scope:SCOPE_SE
	v_mul_f32_e32 v57, v16, v34
	v_mul_f32_e32 v58, v16, v33
	v_mul_f32_e32 v16, v18, v38
	v_mul_f32_e32 v18, v18, v37
	v_mul_f32_e32 v60, v22, v46
	v_dual_mul_f32 v22, v22, v45 :: v_dual_mul_f32 v61, v48, v12
	v_mul_f32_e32 v48, v48, v11
	v_mul_f32_e32 v62, v36, v24
	v_dual_mul_f32 v24, v35, v24 :: v_dual_mul_f32 v63, v40, v26
	v_mul_f32_e32 v26, v39, v26
	v_mul_f32_e32 v64, v44, v28
	;; [unrolled: 1-line block ×5, first 2 shown]
	v_fma_f32 v33, v15, v33, -v57
	v_fmac_f32_e32 v58, v15, v34
	v_fma_f32 v15, v17, v37, -v16
	v_fmac_f32_e32 v18, v17, v38
	;; [unrolled: 2-line block ×3, first 2 shown]
	v_fmac_f32_e32 v48, v47, v12
	v_fmac_f32_e32 v24, v36, v23
	v_fma_f32 v12, v39, v25, -v63
	v_fmac_f32_e32 v26, v40, v25
	v_fmac_f32_e32 v28, v44, v27
	;; [unrolled: 1-line block ×3, first 2 shown]
	v_add_f32_e32 v25, v15, v17
	v_fma_f32 v21, v43, v27, -v64
	v_sub_f32_e32 v27, v18, v22
	v_add_f32_e32 v45, v24, v28
	v_sub_f32_e32 v44, v28, v50
	v_add_f32_e32 v28, v28, v50
	v_fma_f32 v25, -0.5, v25, v31
	v_mul_f32_e32 v59, v20, v42
	v_mul_f32_e32 v65, v10, v30
	;; [unrolled: 1-line block ×3, first 2 shown]
	v_fmac_f32_e32 v24, -0.5, v28
	v_fmamk_f32 v28, v27, 0x3f5db3d7, v25
	v_dual_fmac_f32 v25, 0xbf5db3d7, v27 :: v_dual_mul_f32 v20, v20, v41
	v_fma_f32 v16, v19, v41, -v59
	v_fma_f32 v11, v47, v11, -v61
	v_fmac_f32_e32 v30, v10, v29
	v_fma_f32 v10, v53, v49, -v66
	v_fmac_f32_e32 v20, v19, v42
	v_fma_f32 v19, v35, v23, -v62
	v_add_f32_e32 v35, v16, v11
	v_fma_f32 v9, v9, v29, -v65
	v_add_f32_e32 v29, v32, v18
	v_sub_f32_e32 v36, v20, v48
	v_add_f32_e32 v37, v58, v20
	v_add_f32_e32 v20, v20, v48
	;; [unrolled: 1-line block ×4, first 2 shown]
	v_dual_add_f32 v23, v31, v15 :: v_dual_add_f32 v34, v33, v16
	v_sub_f32_e32 v16, v16, v11
	v_add_f32_e32 v41, v52, v26
	v_dual_fmac_f32 v33, -0.5, v35 :: v_dual_fmac_f32 v58, -0.5, v20
	v_dual_add_f32 v38, v51, v12 :: v_dual_add_f32 v39, v12, v9
	v_sub_f32_e32 v40, v26, v30
	v_add_f32_e32 v26, v26, v30
	v_sub_f32_e32 v42, v12, v9
	v_dual_add_f32 v12, v19, v21 :: v_dual_sub_f32 v21, v21, v10
	v_add_f32_e32 v22, v29, v22
	v_fma_f32 v29, -0.5, v18, v32
	v_dual_add_f32 v18, v37, v48 :: v_dual_fmac_f32 v19, -0.5, v43
	v_sub_f32_e32 v15, v15, v17
	v_add_f32_e32 v17, v23, v17
	v_add_f32_e32 v11, v34, v11
	v_add_f32_e32 v23, v41, v30
	v_dual_add_f32 v30, v45, v50 :: v_dual_fmamk_f32 v31, v36, 0x3f5db3d7, v33
	v_fmamk_f32 v34, v16, 0xbf5db3d7, v58
	v_add_f32_e32 v20, v38, v9
	v_fmac_f32_e32 v52, -0.5, v26
	v_dual_add_f32 v26, v12, v10 :: v_dual_fmac_f32 v33, 0xbf5db3d7, v36
	v_fmac_f32_e32 v58, 0x3f5db3d7, v16
	v_add_f32_e32 v10, v22, v18
	v_sub_f32_e32 v12, v22, v18
	v_fmamk_f32 v22, v44, 0x3f5db3d7, v19
	v_fmamk_f32 v37, v21, 0xbf5db3d7, v24
	v_fma_f32 v32, -0.5, v39, v51
	v_fmac_f32_e32 v19, 0xbf5db3d7, v44
	v_fmac_f32_e32 v24, 0x3f5db3d7, v21
	v_add_f32_e32 v16, v23, v30
	v_sub_f32_e32 v18, v23, v30
	v_mul_f32_e32 v23, 0x3f5db3d7, v34
	v_dual_mul_f32 v30, 0xbf5db3d7, v31 :: v_dual_fmamk_f32 v27, v15, 0xbf5db3d7, v29
	v_fmac_f32_e32 v29, 0x3f5db3d7, v15
	v_add_f32_e32 v9, v17, v11
	v_sub_f32_e32 v11, v17, v11
	v_add_f32_e32 v15, v20, v26
	v_dual_sub_f32 v17, v20, v26 :: v_dual_mul_f32 v26, -0.5, v33
	v_dual_mul_f32 v38, -0.5, v58 :: v_dual_mul_f32 v39, 0x3f5db3d7, v37
	v_mul_f32_e32 v41, 0xbf5db3d7, v22
	v_fmamk_f32 v35, v40, 0x3f5db3d7, v32
	v_fmac_f32_e32 v32, 0xbf5db3d7, v40
	v_fmamk_f32 v36, v42, 0xbf5db3d7, v52
	v_fmac_f32_e32 v52, 0x3f5db3d7, v42
	v_mul_f32_e32 v40, -0.5, v19
	v_dual_mul_f32 v42, -0.5, v24 :: v_dual_fmac_f32 v23, 0.5, v31
	v_fmac_f32_e32 v30, 0.5, v34
	v_fmac_f32_e32 v26, 0x3f5db3d7, v58
	v_fmac_f32_e32 v38, 0xbf5db3d7, v33
	v_dual_fmac_f32 v39, 0.5, v22 :: v_dual_add_nc_u32 v56, 0x1a00, v8
	v_dual_fmac_f32 v41, 0.5, v37 :: v_dual_fmac_f32 v40, 0x3f5db3d7, v24
	v_fmac_f32_e32 v42, 0xbf5db3d7, v19
	v_dual_add_f32 v19, v28, v23 :: v_dual_add_f32 v20, v27, v30
	v_add_f32_e32 v21, v25, v26
	v_dual_add_f32 v22, v29, v38 :: v_dual_sub_f32 v23, v28, v23
	v_sub_f32_e32 v25, v25, v26
	v_sub_f32_e32 v24, v27, v30
	v_dual_sub_f32 v26, v29, v38 :: v_dual_add_f32 v27, v35, v39
	v_add_f32_e32 v28, v36, v41
	v_add_f32_e32 v29, v32, v40
	v_dual_add_f32 v30, v52, v42 :: v_dual_sub_f32 v31, v35, v39
	v_sub_f32_e32 v33, v32, v40
	v_sub_f32_e32 v32, v36, v41
	;; [unrolled: 1-line block ×3, first 2 shown]
	ds_store_2addr_b64 v13, v[9:10], v[19:20] offset1:216
	ds_store_2addr_b64 v5, v[21:22], v[11:12] offset0:16 offset1:232
	ds_store_2addr_b64 v7, v[23:24], v[25:26] offset0:32 offset1:248
	ds_store_2addr_b64 v8, v[15:16], v[27:28] offset1:216
	ds_store_2addr_b64 v55, v[29:30], v[17:18] offset0:16 offset1:232
	ds_store_2addr_b64 v56, v[31:32], v[33:34] offset0:32 offset1:248
	global_wb scope:SCOPE_SE
	s_wait_dscnt 0x0
	s_barrier_signal -1
	s_barrier_wait -1
	global_inv scope:SCOPE_SE
	ds_load_b64 v[11:12], v13
	v_sub_nc_u32_e32 v15, 0, v1
                                        ; implicit-def: $vgpr7
                                        ; implicit-def: $vgpr16
                                        ; implicit-def: $vgpr17
                                        ; implicit-def: $vgpr9_vgpr10
	v_cmpx_ne_u32_e32 0, v0
	s_wait_alu 0xfffe
	s_xor_b32 s1, exec_lo, s1
	s_cbranch_execz .LBB0_15
; %bb.14:
	ds_load_b64 v[7:8], v15 offset:10368
	s_wait_dscnt 0x0
	v_dual_mov_b32 v1, v6 :: v_dual_add_f32 v10, v8, v12
	s_delay_alu instid0(VALU_DEP_1) | instskip(SKIP_1) | instid1(VALU_DEP_3)
	v_lshlrev_b64_e32 v[5:6], 3, v[0:1]
	v_dual_sub_f32 v9, v11, v7 :: v_dual_sub_f32 v8, v12, v8
	v_dual_add_f32 v7, v7, v11 :: v_dual_mul_f32 v10, 0.5, v10
	s_delay_alu instid0(VALU_DEP_3) | instskip(SKIP_1) | instid1(VALU_DEP_4)
	v_add_co_u32 v5, s0, s4, v5
	s_wait_alu 0xf1ff
	v_add_co_ci_u32_e64 v6, s0, s5, v6, s0
	v_dual_mul_f32 v9, 0.5, v9 :: v_dual_mul_f32 v8, 0.5, v8
	global_load_b64 v[5:6], v[5:6], off offset:10320
	s_wait_loadcnt 0x0
	v_mul_f32_e32 v11, v6, v9
	v_fma_f32 v12, v10, v6, v8
	v_fma_f32 v6, v10, v6, -v8
	s_delay_alu instid0(VALU_DEP_3) | instskip(NEXT) | instid1(VALU_DEP_3)
	v_fma_f32 v16, 0.5, v7, v11
	v_fma_f32 v17, -v5, v9, v12
	s_delay_alu instid0(VALU_DEP_3) | instskip(NEXT) | instid1(VALU_DEP_3)
	v_fma_f32 v8, -v5, v9, v6
	v_fmac_f32_e32 v16, v5, v10
	v_fma_f32 v7, v7, 0.5, -v11
                                        ; implicit-def: $vgpr11_vgpr12
	s_delay_alu instid0(VALU_DEP_1)
	v_fma_f32 v7, -v5, v10, v7
	v_dual_mov_b32 v10, v1 :: v_dual_mov_b32 v9, v0
.LBB0_15:
	s_wait_alu 0xfffe
	s_or_saveexec_b32 s0, s1
	v_mul_i32_i24_e32 v1, 0xffffffd8, v4
	s_wait_alu 0xfffe
	s_xor_b32 exec_lo, exec_lo, s0
	s_cbranch_execz .LBB0_17
; %bb.16:
	s_wait_dscnt 0x0
	v_dual_mov_b32 v17, 0 :: v_dual_add_f32 v16, v11, v12
	v_dual_mov_b32 v9, 0 :: v_dual_mov_b32 v8, 0
	v_dual_sub_f32 v7, v11, v12 :: v_dual_mov_b32 v10, 0
	ds_load_b32 v5, v17 offset:5188
	s_wait_dscnt 0x0
	v_xor_b32_e32 v5, 0x80000000, v5
	ds_store_b32 v17, v5 offset:5188
.LBB0_17:
	s_or_b32 exec_lo, exec_lo, s0
	v_mov_b32_e32 v5, 0
	v_add_nc_u32_e32 v1, v14, v1
	s_delay_alu instid0(VALU_DEP_2) | instskip(NEXT) | instid1(VALU_DEP_1)
	v_lshlrev_b64_e32 v[4:5], 3, v[4:5]
	v_add_co_u32 v4, s0, s4, v4
	s_wait_alu 0xf1ff
	s_delay_alu instid0(VALU_DEP_2)
	v_add_co_ci_u32_e64 v5, s0, s5, v5, s0
	s_add_nc_u64 s[0:1], s[4:5], 0x2850
	s_wait_dscnt 0x0
	global_load_b64 v[11:12], v[4:5], off offset:10320
	v_lshlrev_b64_e32 v[4:5], 3, v[9:10]
	s_wait_alu 0xfffe
	s_delay_alu instid0(VALU_DEP_1) | instskip(SKIP_1) | instid1(VALU_DEP_2)
	v_add_co_u32 v9, s0, s0, v4
	s_wait_alu 0xf1ff
	v_add_co_ci_u32_e64 v10, s0, s1, v5, s0
	s_clause 0x3
	global_load_b64 v[18:19], v[9:10], off offset:1728
	global_load_b64 v[20:21], v[9:10], off offset:2592
	;; [unrolled: 1-line block ×4, first 2 shown]
	ds_store_2addr_b32 v13, v16, v17 offset1:1
	ds_store_b64 v15, v[7:8] offset:10368
	ds_load_b64 v[6:7], v1
	ds_load_b64 v[16:17], v15 offset:9504
	s_wait_dscnt 0x0
	v_sub_f32_e32 v8, v6, v16
	v_add_f32_e32 v14, v7, v17
	v_dual_sub_f32 v7, v7, v17 :: v_dual_add_f32 v6, v6, v16
	s_delay_alu instid0(VALU_DEP_1) | instskip(NEXT) | instid1(VALU_DEP_3)
	v_dual_mul_f32 v8, 0.5, v8 :: v_dual_mul_f32 v7, 0.5, v7
	v_mul_f32_e32 v14, 0.5, v14
	s_wait_loadcnt 0x4
	s_delay_alu instid0(VALU_DEP_2) | instskip(NEXT) | instid1(VALU_DEP_2)
	v_mul_f32_e32 v16, v12, v8
	v_fma_f32 v17, v14, v12, v7
	v_fma_f32 v7, v14, v12, -v7
	s_delay_alu instid0(VALU_DEP_3) | instskip(SKIP_1) | instid1(VALU_DEP_4)
	v_fma_f32 v12, 0.5, v6, v16
	v_fma_f32 v6, v6, 0.5, -v16
	v_fma_f32 v16, -v11, v8, v17
	s_delay_alu instid0(VALU_DEP_4) | instskip(NEXT) | instid1(VALU_DEP_4)
	v_fma_f32 v7, -v11, v8, v7
	v_fmac_f32_e32 v12, v11, v14
	s_delay_alu instid0(VALU_DEP_4)
	v_fma_f32 v6, -v11, v14, v6
	ds_store_b32 v1, v16 offset:4
	ds_store_b32 v15, v7 offset:9508
	ds_store_b32 v1, v12
	ds_store_b32 v15, v6 offset:9504
	ds_load_b64 v[6:7], v13 offset:1728
	ds_load_b64 v[11:12], v15 offset:8640
	s_wait_dscnt 0x0
	v_dual_sub_f32 v1, v6, v11 :: v_dual_add_f32 v8, v7, v12
	s_delay_alu instid0(VALU_DEP_1) | instskip(NEXT) | instid1(VALU_DEP_1)
	v_dual_sub_f32 v7, v7, v12 :: v_dual_mul_f32 v12, 0.5, v1
	v_dual_mul_f32 v8, 0.5, v8 :: v_dual_mul_f32 v1, 0.5, v7
	s_wait_loadcnt 0x3
	s_delay_alu instid0(VALU_DEP_2) | instskip(NEXT) | instid1(VALU_DEP_2)
	v_dual_add_f32 v6, v6, v11 :: v_dual_mul_f32 v7, v19, v12
	v_fma_f32 v11, v8, v19, v1
	v_fma_f32 v14, v8, v19, -v1
	v_add_nc_u32_e32 v1, 0x400, v13
	s_delay_alu instid0(VALU_DEP_4) | instskip(SKIP_3) | instid1(VALU_DEP_4)
	v_fma_f32 v16, 0.5, v6, v7
	v_fma_f32 v6, v6, 0.5, -v7
	v_fma_f32 v11, -v18, v12, v11
	v_fma_f32 v7, -v18, v12, v14
	v_fmac_f32_e32 v16, v18, v8
	s_delay_alu instid0(VALU_DEP_4)
	v_fma_f32 v6, -v18, v8, v6
	ds_store_2addr_b32 v1, v16, v11 offset0:176 offset1:177
	ds_store_b64 v15, v[6:7] offset:8640
	ds_load_b64 v[6:7], v13 offset:2592
	ds_load_b64 v[11:12], v15 offset:7776
	s_wait_dscnt 0x0
	v_sub_f32_e32 v8, v6, v11
	v_add_f32_e32 v14, v7, v12
	v_dual_sub_f32 v7, v7, v12 :: v_dual_add_f32 v6, v6, v11
	s_delay_alu instid0(VALU_DEP_3) | instskip(NEXT) | instid1(VALU_DEP_2)
	v_mul_f32_e32 v8, 0.5, v8
	v_dual_mul_f32 v12, 0.5, v14 :: v_dual_mul_f32 v7, 0.5, v7
	s_wait_loadcnt 0x2
	s_delay_alu instid0(VALU_DEP_2) | instskip(NEXT) | instid1(VALU_DEP_2)
	v_mul_f32_e32 v11, v21, v8
	v_fma_f32 v14, v12, v21, v7
	v_fma_f32 v7, v12, v21, -v7
	s_delay_alu instid0(VALU_DEP_3)
	v_fma_f32 v16, 0.5, v6, v11
	v_fma_f32 v6, v6, 0.5, -v11
	v_add_nc_u32_e32 v11, 0x800, v13
	v_fma_f32 v14, -v20, v8, v14
	v_fma_f32 v7, -v20, v8, v7
	v_fmac_f32_e32 v16, v20, v12
	v_fma_f32 v6, -v20, v12, v6
	ds_store_2addr_b32 v11, v16, v14 offset0:136 offset1:137
	ds_store_b64 v15, v[6:7] offset:7776
	ds_load_b64 v[6:7], v13 offset:3456
	ds_load_b64 v[11:12], v15 offset:6912
	s_wait_dscnt 0x0
	v_sub_f32_e32 v8, v6, v11
	v_add_f32_e32 v14, v7, v12
	v_dual_sub_f32 v7, v7, v12 :: v_dual_add_f32 v6, v6, v11
	s_delay_alu instid0(VALU_DEP_3) | instskip(NEXT) | instid1(VALU_DEP_2)
	v_mul_f32_e32 v8, 0.5, v8
	v_dual_mul_f32 v12, 0.5, v14 :: v_dual_mul_f32 v7, 0.5, v7
	s_wait_loadcnt 0x1
	s_delay_alu instid0(VALU_DEP_2) | instskip(NEXT) | instid1(VALU_DEP_2)
	v_mul_f32_e32 v11, v23, v8
	v_fma_f32 v14, v12, v23, v7
	v_fma_f32 v7, v12, v23, -v7
	s_delay_alu instid0(VALU_DEP_3)
	v_fma_f32 v16, 0.5, v6, v11
	v_fma_f32 v11, v6, 0.5, -v11
	v_add_nc_u32_e32 v6, 0xc00, v13
	v_fma_f32 v14, -v22, v8, v14
	v_fma_f32 v8, -v22, v8, v7
	v_fmac_f32_e32 v16, v22, v12
	v_fma_f32 v7, -v22, v12, v11
	ds_store_2addr_b32 v6, v16, v14 offset0:96 offset1:97
	ds_store_b64 v15, v[7:8] offset:6912
	ds_load_b64 v[7:8], v13 offset:4320
	ds_load_b64 v[11:12], v15 offset:6048
	s_wait_dscnt 0x0
	v_sub_f32_e32 v14, v7, v11
	v_add_f32_e32 v16, v8, v12
	v_dual_sub_f32 v8, v8, v12 :: v_dual_add_f32 v7, v7, v11
	s_delay_alu instid0(VALU_DEP_3) | instskip(NEXT) | instid1(VALU_DEP_3)
	v_mul_f32_e32 v12, 0.5, v14
	v_mul_f32_e32 v14, 0.5, v16
	s_delay_alu instid0(VALU_DEP_3) | instskip(SKIP_1) | instid1(VALU_DEP_3)
	v_mul_f32_e32 v8, 0.5, v8
	s_wait_loadcnt 0x0
	v_mul_f32_e32 v11, v10, v12
	s_delay_alu instid0(VALU_DEP_2) | instskip(SKIP_1) | instid1(VALU_DEP_3)
	v_fma_f32 v16, v14, v10, v8
	v_fma_f32 v8, v14, v10, -v8
	v_fma_f32 v17, 0.5, v7, v11
	v_fma_f32 v11, v7, 0.5, -v11
	v_add_nc_u32_e32 v7, 0x1000, v13
	v_fma_f32 v16, -v9, v12, v16
	v_fma_f32 v10, -v9, v12, v8
	v_fmac_f32_e32 v17, v9, v14
	v_fma_f32 v9, -v9, v14, v11
	ds_store_2addr_b32 v7, v17, v16 offset0:56 offset1:57
	ds_store_b64 v15, v[9:10] offset:6048
	global_wb scope:SCOPE_SE
	s_wait_dscnt 0x0
	s_barrier_signal -1
	s_barrier_wait -1
	global_inv scope:SCOPE_SE
	s_and_saveexec_b32 s0, vcc_lo
	s_cbranch_execz .LBB0_20
; %bb.18:
	v_add_nc_u32_e32 v12, 0x1800, v13
	ds_load_2addr_b64 v[8:11], v13 offset1:108
	ds_load_2addr_b64 v[14:17], v1 offset0:88 offset1:196
	ds_load_2addr_b64 v[18:21], v6 offset0:48 offset1:156
	;; [unrolled: 1-line block ×4, first 2 shown]
	v_add_nc_u32_e32 v6, 0x2000, v13
	v_add_co_u32 v1, vcc_lo, s8, v2
	s_wait_alu 0xfffd
	v_add_co_ci_u32_e32 v2, vcc_lo, s9, v3, vcc_lo
	ds_load_2addr_b64 v[30:33], v6 offset0:56 offset1:164
	v_add_co_u32 v3, vcc_lo, v1, v4
	s_wait_alu 0xfffd
	v_add_co_ci_u32_e32 v4, vcc_lo, v2, v5, vcc_lo
	v_cmp_eq_u32_e32 vcc_lo, 0x6b, v0
	s_wait_dscnt 0x5
	s_clause 0x1
	global_store_b64 v[3:4], v[8:9], off
	global_store_b64 v[3:4], v[10:11], off offset:864
	s_wait_dscnt 0x4
	s_clause 0x1
	global_store_b64 v[3:4], v[14:15], off offset:1728
	global_store_b64 v[3:4], v[16:17], off offset:2592
	s_wait_dscnt 0x3
	s_clause 0x1
	global_store_b64 v[3:4], v[18:19], off offset:3456
	;; [unrolled: 4-line block ×5, first 2 shown]
	global_store_b64 v[3:4], v[32:33], off offset:9504
	s_and_b32 exec_lo, exec_lo, vcc_lo
	s_cbranch_execz .LBB0_20
; %bb.19:
	v_mov_b32_e32 v0, 0
	ds_load_b64 v[3:4], v0 offset:10368
	s_wait_dscnt 0x0
	global_store_b64 v[1:2], v[3:4], off offset:10368
.LBB0_20:
	s_nop 0
	s_sendmsg sendmsg(MSG_DEALLOC_VGPRS)
	s_endpgm
	.section	.rodata,"a",@progbits
	.p2align	6, 0x0
	.amdhsa_kernel fft_rtc_fwd_len1296_factors_6_6_6_6_wgs_108_tpt_108_halfLds_sp_ip_CI_unitstride_sbrr_R2C_dirReg
		.amdhsa_group_segment_fixed_size 0
		.amdhsa_private_segment_fixed_size 0
		.amdhsa_kernarg_size 88
		.amdhsa_user_sgpr_count 2
		.amdhsa_user_sgpr_dispatch_ptr 0
		.amdhsa_user_sgpr_queue_ptr 0
		.amdhsa_user_sgpr_kernarg_segment_ptr 1
		.amdhsa_user_sgpr_dispatch_id 0
		.amdhsa_user_sgpr_private_segment_size 0
		.amdhsa_wavefront_size32 1
		.amdhsa_uses_dynamic_stack 0
		.amdhsa_enable_private_segment 0
		.amdhsa_system_sgpr_workgroup_id_x 1
		.amdhsa_system_sgpr_workgroup_id_y 0
		.amdhsa_system_sgpr_workgroup_id_z 0
		.amdhsa_system_sgpr_workgroup_info 0
		.amdhsa_system_vgpr_workitem_id 0
		.amdhsa_next_free_vgpr 74
		.amdhsa_next_free_sgpr 32
		.amdhsa_reserve_vcc 1
		.amdhsa_float_round_mode_32 0
		.amdhsa_float_round_mode_16_64 0
		.amdhsa_float_denorm_mode_32 3
		.amdhsa_float_denorm_mode_16_64 3
		.amdhsa_fp16_overflow 0
		.amdhsa_workgroup_processor_mode 1
		.amdhsa_memory_ordered 1
		.amdhsa_forward_progress 0
		.amdhsa_round_robin_scheduling 0
		.amdhsa_exception_fp_ieee_invalid_op 0
		.amdhsa_exception_fp_denorm_src 0
		.amdhsa_exception_fp_ieee_div_zero 0
		.amdhsa_exception_fp_ieee_overflow 0
		.amdhsa_exception_fp_ieee_underflow 0
		.amdhsa_exception_fp_ieee_inexact 0
		.amdhsa_exception_int_div_zero 0
	.end_amdhsa_kernel
	.text
.Lfunc_end0:
	.size	fft_rtc_fwd_len1296_factors_6_6_6_6_wgs_108_tpt_108_halfLds_sp_ip_CI_unitstride_sbrr_R2C_dirReg, .Lfunc_end0-fft_rtc_fwd_len1296_factors_6_6_6_6_wgs_108_tpt_108_halfLds_sp_ip_CI_unitstride_sbrr_R2C_dirReg
                                        ; -- End function
	.section	.AMDGPU.csdata,"",@progbits
; Kernel info:
; codeLenInByte = 7516
; NumSgprs: 34
; NumVgprs: 74
; ScratchSize: 0
; MemoryBound: 0
; FloatMode: 240
; IeeeMode: 1
; LDSByteSize: 0 bytes/workgroup (compile time only)
; SGPRBlocks: 4
; VGPRBlocks: 9
; NumSGPRsForWavesPerEU: 34
; NumVGPRsForWavesPerEU: 74
; Occupancy: 16
; WaveLimiterHint : 1
; COMPUTE_PGM_RSRC2:SCRATCH_EN: 0
; COMPUTE_PGM_RSRC2:USER_SGPR: 2
; COMPUTE_PGM_RSRC2:TRAP_HANDLER: 0
; COMPUTE_PGM_RSRC2:TGID_X_EN: 1
; COMPUTE_PGM_RSRC2:TGID_Y_EN: 0
; COMPUTE_PGM_RSRC2:TGID_Z_EN: 0
; COMPUTE_PGM_RSRC2:TIDIG_COMP_CNT: 0
	.text
	.p2alignl 7, 3214868480
	.fill 96, 4, 3214868480
	.type	__hip_cuid_36f44d6a09bd82c9,@object ; @__hip_cuid_36f44d6a09bd82c9
	.section	.bss,"aw",@nobits
	.globl	__hip_cuid_36f44d6a09bd82c9
__hip_cuid_36f44d6a09bd82c9:
	.byte	0                               ; 0x0
	.size	__hip_cuid_36f44d6a09bd82c9, 1

	.ident	"AMD clang version 19.0.0git (https://github.com/RadeonOpenCompute/llvm-project roc-6.4.0 25133 c7fe45cf4b819c5991fe208aaa96edf142730f1d)"
	.section	".note.GNU-stack","",@progbits
	.addrsig
	.addrsig_sym __hip_cuid_36f44d6a09bd82c9
	.amdgpu_metadata
---
amdhsa.kernels:
  - .args:
      - .actual_access:  read_only
        .address_space:  global
        .offset:         0
        .size:           8
        .value_kind:     global_buffer
      - .offset:         8
        .size:           8
        .value_kind:     by_value
      - .actual_access:  read_only
        .address_space:  global
        .offset:         16
        .size:           8
        .value_kind:     global_buffer
      - .actual_access:  read_only
        .address_space:  global
        .offset:         24
        .size:           8
        .value_kind:     global_buffer
      - .offset:         32
        .size:           8
        .value_kind:     by_value
      - .actual_access:  read_only
        .address_space:  global
        .offset:         40
        .size:           8
        .value_kind:     global_buffer
      - .actual_access:  read_only
        .address_space:  global
        .offset:         48
        .size:           8
        .value_kind:     global_buffer
      - .offset:         56
        .size:           4
        .value_kind:     by_value
      - .actual_access:  read_only
        .address_space:  global
        .offset:         64
        .size:           8
        .value_kind:     global_buffer
      - .actual_access:  read_only
        .address_space:  global
        .offset:         72
        .size:           8
        .value_kind:     global_buffer
      - .address_space:  global
        .offset:         80
        .size:           8
        .value_kind:     global_buffer
    .group_segment_fixed_size: 0
    .kernarg_segment_align: 8
    .kernarg_segment_size: 88
    .language:       OpenCL C
    .language_version:
      - 2
      - 0
    .max_flat_workgroup_size: 108
    .name:           fft_rtc_fwd_len1296_factors_6_6_6_6_wgs_108_tpt_108_halfLds_sp_ip_CI_unitstride_sbrr_R2C_dirReg
    .private_segment_fixed_size: 0
    .sgpr_count:     34
    .sgpr_spill_count: 0
    .symbol:         fft_rtc_fwd_len1296_factors_6_6_6_6_wgs_108_tpt_108_halfLds_sp_ip_CI_unitstride_sbrr_R2C_dirReg.kd
    .uniform_work_group_size: 1
    .uses_dynamic_stack: false
    .vgpr_count:     74
    .vgpr_spill_count: 0
    .wavefront_size: 32
    .workgroup_processor_mode: 1
amdhsa.target:   amdgcn-amd-amdhsa--gfx1201
amdhsa.version:
  - 1
  - 2
...

	.end_amdgpu_metadata
